;; amdgpu-corpus repo=ROCm/rocFFT kind=compiled arch=gfx906 opt=O3
	.text
	.amdgcn_target "amdgcn-amd-amdhsa--gfx906"
	.amdhsa_code_object_version 6
	.protected	fft_rtc_fwd_len625_factors_5_5_5_5_wgs_125_tpt_125_halfLds_dp_op_CI_CI_unitstride_sbrr_dirReg ; -- Begin function fft_rtc_fwd_len625_factors_5_5_5_5_wgs_125_tpt_125_halfLds_dp_op_CI_CI_unitstride_sbrr_dirReg
	.globl	fft_rtc_fwd_len625_factors_5_5_5_5_wgs_125_tpt_125_halfLds_dp_op_CI_CI_unitstride_sbrr_dirReg
	.p2align	8
	.type	fft_rtc_fwd_len625_factors_5_5_5_5_wgs_125_tpt_125_halfLds_dp_op_CI_CI_unitstride_sbrr_dirReg,@function
fft_rtc_fwd_len625_factors_5_5_5_5_wgs_125_tpt_125_halfLds_dp_op_CI_CI_unitstride_sbrr_dirReg: ; @fft_rtc_fwd_len625_factors_5_5_5_5_wgs_125_tpt_125_halfLds_dp_op_CI_CI_unitstride_sbrr_dirReg
; %bb.0:
	s_load_dwordx4 s[8:11], s[4:5], 0x58
	s_load_dwordx4 s[12:15], s[4:5], 0x0
	;; [unrolled: 1-line block ×3, first 2 shown]
	v_mul_u32_u24_e32 v1, 0x20d, v0
	v_add_u32_sdwa v6, s6, v1 dst_sel:DWORD dst_unused:UNUSED_PAD src0_sel:DWORD src1_sel:WORD_1
	v_mov_b32_e32 v1, 0
	s_waitcnt lgkmcnt(0)
	v_cmp_lt_u64_e64 s[0:1], s[14:15], 2
	v_mov_b32_e32 v4, 0
	v_mov_b32_e32 v7, v1
	s_and_b64 vcc, exec, s[0:1]
	v_mov_b32_e32 v5, 0
	s_cbranch_vccnz .LBB0_8
; %bb.1:
	s_load_dwordx2 s[0:1], s[4:5], 0x10
	s_add_u32 s2, s18, 8
	s_addc_u32 s3, s19, 0
	s_add_u32 s6, s16, 8
	v_mov_b32_e32 v4, 0
	s_addc_u32 s7, s17, 0
	v_mov_b32_e32 v5, 0
	s_waitcnt lgkmcnt(0)
	s_add_u32 s20, s0, 8
	v_mov_b32_e32 v21, v5
	s_addc_u32 s21, s1, 0
	s_mov_b64 s[22:23], 1
	v_mov_b32_e32 v20, v4
.LBB0_2:                                ; =>This Inner Loop Header: Depth=1
	s_load_dwordx2 s[24:25], s[20:21], 0x0
                                        ; implicit-def: $vgpr22_vgpr23
	s_waitcnt lgkmcnt(0)
	v_or_b32_e32 v2, s25, v7
	v_cmp_ne_u64_e32 vcc, 0, v[1:2]
	s_and_saveexec_b64 s[0:1], vcc
	s_xor_b64 s[26:27], exec, s[0:1]
	s_cbranch_execz .LBB0_4
; %bb.3:                                ;   in Loop: Header=BB0_2 Depth=1
	v_cvt_f32_u32_e32 v2, s24
	v_cvt_f32_u32_e32 v3, s25
	s_sub_u32 s0, 0, s24
	s_subb_u32 s1, 0, s25
	v_mac_f32_e32 v2, 0x4f800000, v3
	v_rcp_f32_e32 v2, v2
	v_mul_f32_e32 v2, 0x5f7ffffc, v2
	v_mul_f32_e32 v3, 0x2f800000, v2
	v_trunc_f32_e32 v3, v3
	v_mac_f32_e32 v2, 0xcf800000, v3
	v_cvt_u32_f32_e32 v3, v3
	v_cvt_u32_f32_e32 v2, v2
	v_mul_lo_u32 v8, s0, v3
	v_mul_hi_u32 v9, s0, v2
	v_mul_lo_u32 v11, s1, v2
	v_mul_lo_u32 v10, s0, v2
	v_add_u32_e32 v8, v9, v8
	v_add_u32_e32 v8, v8, v11
	v_mul_hi_u32 v9, v2, v10
	v_mul_lo_u32 v11, v2, v8
	v_mul_hi_u32 v13, v2, v8
	v_mul_hi_u32 v12, v3, v10
	v_mul_lo_u32 v10, v3, v10
	v_mul_hi_u32 v14, v3, v8
	v_add_co_u32_e32 v9, vcc, v9, v11
	v_addc_co_u32_e32 v11, vcc, 0, v13, vcc
	v_mul_lo_u32 v8, v3, v8
	v_add_co_u32_e32 v9, vcc, v9, v10
	v_addc_co_u32_e32 v9, vcc, v11, v12, vcc
	v_addc_co_u32_e32 v10, vcc, 0, v14, vcc
	v_add_co_u32_e32 v8, vcc, v9, v8
	v_addc_co_u32_e32 v9, vcc, 0, v10, vcc
	v_add_co_u32_e32 v2, vcc, v2, v8
	v_addc_co_u32_e32 v3, vcc, v3, v9, vcc
	v_mul_lo_u32 v8, s0, v3
	v_mul_hi_u32 v9, s0, v2
	v_mul_lo_u32 v10, s1, v2
	v_mul_lo_u32 v11, s0, v2
	v_add_u32_e32 v8, v9, v8
	v_add_u32_e32 v8, v8, v10
	v_mul_lo_u32 v12, v2, v8
	v_mul_hi_u32 v13, v2, v11
	v_mul_hi_u32 v14, v2, v8
	v_mul_hi_u32 v10, v3, v11
	v_mul_lo_u32 v11, v3, v11
	v_mul_hi_u32 v9, v3, v8
	v_add_co_u32_e32 v12, vcc, v13, v12
	v_addc_co_u32_e32 v13, vcc, 0, v14, vcc
	v_mul_lo_u32 v8, v3, v8
	v_add_co_u32_e32 v11, vcc, v12, v11
	v_addc_co_u32_e32 v10, vcc, v13, v10, vcc
	v_addc_co_u32_e32 v9, vcc, 0, v9, vcc
	v_add_co_u32_e32 v8, vcc, v10, v8
	v_addc_co_u32_e32 v9, vcc, 0, v9, vcc
	v_add_co_u32_e32 v8, vcc, v2, v8
	v_addc_co_u32_e32 v9, vcc, v3, v9, vcc
	v_mad_u64_u32 v[2:3], s[0:1], v6, v9, 0
	v_mul_hi_u32 v10, v6, v8
	v_add_co_u32_e32 v10, vcc, v10, v2
	v_addc_co_u32_e32 v11, vcc, 0, v3, vcc
	v_mad_u64_u32 v[2:3], s[0:1], v7, v8, 0
	v_mad_u64_u32 v[8:9], s[0:1], v7, v9, 0
	v_add_co_u32_e32 v2, vcc, v10, v2
	v_addc_co_u32_e32 v2, vcc, v11, v3, vcc
	v_addc_co_u32_e32 v3, vcc, 0, v9, vcc
	v_add_co_u32_e32 v8, vcc, v2, v8
	v_addc_co_u32_e32 v9, vcc, 0, v3, vcc
	v_mul_lo_u32 v10, s25, v8
	v_mul_lo_u32 v11, s24, v9
	v_mad_u64_u32 v[2:3], s[0:1], s24, v8, 0
	v_add3_u32 v3, v3, v11, v10
	v_sub_u32_e32 v10, v7, v3
	v_mov_b32_e32 v11, s25
	v_sub_co_u32_e32 v2, vcc, v6, v2
	v_subb_co_u32_e64 v10, s[0:1], v10, v11, vcc
	v_subrev_co_u32_e64 v11, s[0:1], s24, v2
	v_subbrev_co_u32_e64 v10, s[0:1], 0, v10, s[0:1]
	v_cmp_le_u32_e64 s[0:1], s25, v10
	v_cndmask_b32_e64 v12, 0, -1, s[0:1]
	v_cmp_le_u32_e64 s[0:1], s24, v11
	v_cndmask_b32_e64 v11, 0, -1, s[0:1]
	v_cmp_eq_u32_e64 s[0:1], s25, v10
	v_cndmask_b32_e64 v10, v12, v11, s[0:1]
	v_add_co_u32_e64 v11, s[0:1], 2, v8
	v_addc_co_u32_e64 v12, s[0:1], 0, v9, s[0:1]
	v_add_co_u32_e64 v13, s[0:1], 1, v8
	v_addc_co_u32_e64 v14, s[0:1], 0, v9, s[0:1]
	v_subb_co_u32_e32 v3, vcc, v7, v3, vcc
	v_cmp_ne_u32_e64 s[0:1], 0, v10
	v_cmp_le_u32_e32 vcc, s25, v3
	v_cndmask_b32_e64 v10, v14, v12, s[0:1]
	v_cndmask_b32_e64 v12, 0, -1, vcc
	v_cmp_le_u32_e32 vcc, s24, v2
	v_cndmask_b32_e64 v2, 0, -1, vcc
	v_cmp_eq_u32_e32 vcc, s25, v3
	v_cndmask_b32_e32 v2, v12, v2, vcc
	v_cmp_ne_u32_e32 vcc, 0, v2
	v_cndmask_b32_e64 v2, v13, v11, s[0:1]
	v_cndmask_b32_e32 v23, v9, v10, vcc
	v_cndmask_b32_e32 v22, v8, v2, vcc
.LBB0_4:                                ;   in Loop: Header=BB0_2 Depth=1
	s_andn2_saveexec_b64 s[0:1], s[26:27]
	s_cbranch_execz .LBB0_6
; %bb.5:                                ;   in Loop: Header=BB0_2 Depth=1
	v_cvt_f32_u32_e32 v2, s24
	s_sub_i32 s26, 0, s24
	v_mov_b32_e32 v23, v1
	v_rcp_iflag_f32_e32 v2, v2
	v_mul_f32_e32 v2, 0x4f7ffffe, v2
	v_cvt_u32_f32_e32 v2, v2
	v_mul_lo_u32 v3, s26, v2
	v_mul_hi_u32 v3, v2, v3
	v_add_u32_e32 v2, v2, v3
	v_mul_hi_u32 v2, v6, v2
	v_mul_lo_u32 v3, v2, s24
	v_add_u32_e32 v8, 1, v2
	v_sub_u32_e32 v3, v6, v3
	v_subrev_u32_e32 v9, s24, v3
	v_cmp_le_u32_e32 vcc, s24, v3
	v_cndmask_b32_e32 v3, v3, v9, vcc
	v_cndmask_b32_e32 v2, v2, v8, vcc
	v_add_u32_e32 v8, 1, v2
	v_cmp_le_u32_e32 vcc, s24, v3
	v_cndmask_b32_e32 v22, v2, v8, vcc
.LBB0_6:                                ;   in Loop: Header=BB0_2 Depth=1
	s_or_b64 exec, exec, s[0:1]
	v_mul_lo_u32 v8, v23, s24
	v_mul_lo_u32 v9, v22, s25
	v_mad_u64_u32 v[2:3], s[0:1], v22, s24, 0
	s_load_dwordx2 s[0:1], s[6:7], 0x0
	s_load_dwordx2 s[24:25], s[2:3], 0x0
	v_add3_u32 v3, v3, v9, v8
	v_sub_co_u32_e32 v2, vcc, v6, v2
	v_subb_co_u32_e32 v3, vcc, v7, v3, vcc
	s_waitcnt lgkmcnt(0)
	v_mul_lo_u32 v6, s0, v3
	v_mul_lo_u32 v7, s1, v2
	v_mad_u64_u32 v[4:5], s[0:1], s0, v2, v[4:5]
	v_mul_lo_u32 v3, s24, v3
	v_mul_lo_u32 v8, s25, v2
	v_mad_u64_u32 v[20:21], s[0:1], s24, v2, v[20:21]
	s_add_u32 s22, s22, 1
	s_addc_u32 s23, s23, 0
	s_add_u32 s2, s2, 8
	v_add3_u32 v21, v8, v21, v3
	s_addc_u32 s3, s3, 0
	v_mov_b32_e32 v2, s14
	s_add_u32 s6, s6, 8
	v_mov_b32_e32 v3, s15
	s_addc_u32 s7, s7, 0
	v_cmp_ge_u64_e32 vcc, s[22:23], v[2:3]
	s_add_u32 s20, s20, 8
	v_add3_u32 v5, v7, v5, v6
	s_addc_u32 s21, s21, 0
	s_cbranch_vccnz .LBB0_9
; %bb.7:                                ;   in Loop: Header=BB0_2 Depth=1
	v_mov_b32_e32 v6, v22
	v_mov_b32_e32 v7, v23
	s_branch .LBB0_2
.LBB0_8:
	v_mov_b32_e32 v21, v5
	v_mov_b32_e32 v23, v7
	;; [unrolled: 1-line block ×4, first 2 shown]
.LBB0_9:
	s_load_dwordx2 s[0:1], s[4:5], 0x28
	s_lshl_b64 s[4:5], s[14:15], 3
	s_add_u32 s14, s18, s4
	s_addc_u32 s15, s19, s5
                                        ; implicit-def: $sgpr6_sgpr7
                                        ; implicit-def: $vgpr26
	s_waitcnt lgkmcnt(0)
	v_cmp_gt_u64_e32 vcc, s[0:1], v[22:23]
	v_cmp_le_u64_e64 s[0:1], s[0:1], v[22:23]
	s_and_saveexec_b64 s[2:3], s[0:1]
	s_xor_b64 s[0:1], exec, s[2:3]
; %bb.10:
	s_mov_b32 s2, 0x20c49bb
	v_mul_hi_u32 v1, v0, s2
	s_mov_b64 s[6:7], 0
                                        ; implicit-def: $vgpr4_vgpr5
	v_mul_u32_u24_e32 v1, 0x7d, v1
	v_sub_u32_e32 v26, v0, v1
                                        ; implicit-def: $vgpr0
; %bb.11:
	s_or_saveexec_b64 s[2:3], s[0:1]
	v_mov_b32_e32 v25, s7
	v_mov_b32_e32 v24, s6
                                        ; implicit-def: $vgpr14_vgpr15
                                        ; implicit-def: $vgpr10_vgpr11
                                        ; implicit-def: $vgpr18_vgpr19
                                        ; implicit-def: $vgpr6_vgpr7
                                        ; implicit-def: $vgpr2_vgpr3
	s_xor_b64 exec, exec, s[2:3]
	s_cbranch_execz .LBB0_13
; %bb.12:
	s_add_u32 s0, s16, s4
	s_addc_u32 s1, s17, s5
	s_load_dwordx2 s[0:1], s[0:1], 0x0
	s_mov_b32 s4, 0x20c49bb
	v_mul_hi_u32 v3, v0, s4
	s_waitcnt lgkmcnt(0)
	v_mul_lo_u32 v6, s1, v22
	v_mul_lo_u32 v7, s0, v23
	v_mad_u64_u32 v[1:2], s[0:1], s0, v22, 0
	v_mul_u32_u24_e32 v3, 0x7d, v3
	v_sub_u32_e32 v26, v0, v3
	v_add3_u32 v2, v2, v7, v6
	v_lshlrev_b64 v[0:1], 4, v[1:2]
	v_mov_b32_e32 v2, s9
	v_add_co_u32_e64 v3, s[0:1], s8, v0
	v_addc_co_u32_e64 v2, s[0:1], v2, v1, s[0:1]
	v_lshlrev_b64 v[0:1], 4, v[4:5]
	v_add_co_u32_e64 v0, s[0:1], v3, v0
	v_addc_co_u32_e64 v1, s[0:1], v2, v1, s[0:1]
	v_lshlrev_b32_e32 v2, 4, v26
	v_add_co_u32_e64 v24, s[0:1], v0, v2
	v_addc_co_u32_e64 v25, s[0:1], 0, v1, s[0:1]
	s_movk_i32 s0, 0x1000
	v_add_co_u32_e64 v27, s[0:1], s0, v24
	global_load_dwordx4 v[0:3], v[24:25], off
	global_load_dwordx4 v[4:7], v[24:25], off offset:2000
	v_addc_co_u32_e64 v28, s[0:1], 0, v25, s[0:1]
	global_load_dwordx4 v[16:19], v[24:25], off offset:4000
	global_load_dwordx4 v[8:11], v[27:28], off offset:1904
	;; [unrolled: 1-line block ×3, first 2 shown]
	v_mov_b32_e32 v27, 0
	v_mov_b32_e32 v24, v26
	;; [unrolled: 1-line block ×3, first 2 shown]
.LBB0_13:
	s_or_b64 exec, exec, s[2:3]
	s_waitcnt vmcnt(3)
	v_add_f64 v[27:28], v[4:5], v[0:1]
	v_add_f64 v[29:30], v[6:7], v[2:3]
	s_waitcnt vmcnt(1)
	v_add_f64 v[31:32], v[8:9], v[16:17]
	s_waitcnt vmcnt(0)
	v_add_f64 v[45:46], v[12:13], v[4:5]
	v_add_f64 v[33:34], v[18:19], -v[10:11]
	v_add_f64 v[35:36], v[4:5], -v[16:17]
	;; [unrolled: 1-line block ×3, first 2 shown]
	v_add_f64 v[39:40], v[10:11], v[18:19]
	v_add_f64 v[27:28], v[16:17], v[27:28]
	;; [unrolled: 1-line block ×3, first 2 shown]
	v_add_f64 v[16:17], v[16:17], -v[8:9]
	v_add_f64 v[41:42], v[6:7], -v[18:19]
	;; [unrolled: 1-line block ×5, first 2 shown]
	v_add_f64 v[6:7], v[14:15], v[6:7]
	v_add_f64 v[27:28], v[8:9], v[27:28]
	;; [unrolled: 1-line block ×3, first 2 shown]
	v_add_f64 v[47:48], v[12:13], -v[8:9]
	v_add_f64 v[8:9], v[8:9], -v[12:13]
	;; [unrolled: 1-line block ×4, first 2 shown]
	s_mov_b32 s0, 0x134454ff
	s_mov_b32 s1, 0x3fee6f0e
	v_add_f64 v[12:13], v[12:13], v[27:28]
	v_add_f64 v[27:28], v[14:15], v[29:30]
	v_fma_f64 v[14:15], v[31:32], -0.5, v[0:1]
	v_fma_f64 v[0:1], v[45:46], -0.5, v[0:1]
	s_mov_b32 s5, 0xbfee6f0e
	s_mov_b32 s4, s0
	v_fma_f64 v[29:30], v[39:40], -0.5, v[2:3]
	v_fma_f64 v[2:3], v[6:7], -0.5, v[2:3]
	v_add_f64 v[6:7], v[47:48], v[35:36]
	s_mov_b32 s2, 0x4755a5e
	v_fma_f64 v[31:32], v[43:44], s[0:1], v[14:15]
	v_fma_f64 v[14:15], v[43:44], s[4:5], v[14:15]
	;; [unrolled: 1-line block ×4, first 2 shown]
	s_mov_b32 s3, 0x3fe2cf23
	s_mov_b32 s7, 0xbfe2cf23
	;; [unrolled: 1-line block ×3, first 2 shown]
	v_fma_f64 v[39:40], v[16:17], s[0:1], v[2:3]
	v_fma_f64 v[31:32], v[33:34], s[2:3], v[31:32]
	;; [unrolled: 1-line block ×7, first 2 shown]
	v_add_f64 v[8:9], v[8:9], v[37:38]
	v_fma_f64 v[0:1], v[43:44], s[6:7], v[0:1]
	v_add_f64 v[37:38], v[49:50], v[41:42]
	v_add_f64 v[10:11], v[10:11], v[18:19]
	v_fma_f64 v[18:19], v[4:5], s[6:7], v[39:40]
	v_fma_f64 v[35:36], v[16:17], s[6:7], v[35:36]
	;; [unrolled: 1-line block ×3, first 2 shown]
	s_mov_b32 s8, 0x372fe950
	v_fma_f64 v[16:17], v[16:17], s[2:3], v[29:30]
	s_mov_b32 s9, 0x3fd3c6ef
	v_fma_f64 v[4:5], v[8:9], s[8:9], v[33:34]
	v_fma_f64 v[0:1], v[8:9], s[8:9], v[0:1]
	;; [unrolled: 1-line block ×8, first 2 shown]
	v_mad_u32_u24 v10, v26, 40, 0
	s_movk_i32 s16, 0xcd
	s_load_dwordx2 s[14:15], s[14:15], 0x0
	ds_write2_b64 v10, v[12:13], v[8:9] offset1:1
	ds_write2_b64 v10, v[4:5], v[0:1] offset0:2 offset1:3
	ds_write_b64 v10, v[6:7] offset:32
	v_mul_lo_u16_sdwa v7, v26, s16 dst_sel:DWORD dst_unused:UNUSED_PAD src0_sel:BYTE_0 src1_sel:DWORD
	v_lshrrev_b16_e32 v7, 10, v7
	v_lshlrev_b32_e32 v11, 5, v26
	v_mul_lo_u16_e32 v9, 5, v7
	v_sub_u32_e32 v8, v10, v11
	v_sub_u16_e32 v9, v26, v9
	v_mov_b32_e32 v49, 6
	v_add_u32_e32 v4, 0x400, v8
	v_lshlrev_b32_sdwa v37, v49, v9 dst_sel:DWORD dst_unused:UNUSED_PAD src0_sel:DWORD src1_sel:BYTE_0
	s_waitcnt lgkmcnt(0)
	s_barrier
	ds_read2_b64 v[0:3], v8 offset1:125
	ds_read2_b64 v[12:15], v4 offset0:122 offset1:247
	ds_read_b64 v[5:6], v8 offset:4000
	s_waitcnt lgkmcnt(0)
	s_barrier
	ds_write2_b64 v10, v[27:28], v[29:30] offset1:1
	ds_write2_b64 v10, v[18:19], v[31:32] offset0:2 offset1:3
	ds_write_b64 v10, v[16:17] offset:32
	s_waitcnt lgkmcnt(0)
	s_barrier
	global_load_dwordx4 v[16:19], v37, s[12:13] offset:16
	global_load_dwordx4 v[27:30], v37, s[12:13] offset:32
	ds_read2_b64 v[31:34], v4 offset0:122 offset1:247
	v_mov_b32_e32 v51, 3
	v_mul_u32_u24_e32 v7, 0xc8, v7
	v_lshlrev_b32_sdwa v9, v51, v9 dst_sel:DWORD dst_unused:UNUSED_PAD src0_sel:DWORD src1_sel:BYTE_0
	v_add3_u32 v7, 0, v7, v9
	s_waitcnt vmcnt(1) lgkmcnt(0)
	v_mul_f64 v[35:36], v[31:32], v[18:19]
	v_mul_f64 v[18:19], v[12:13], v[18:19]
	v_fma_f64 v[35:36], v[12:13], v[16:17], -v[35:36]
	s_waitcnt vmcnt(0)
	v_mul_f64 v[12:13], v[33:34], v[29:30]
	v_fma_f64 v[31:32], v[31:32], v[16:17], v[18:19]
	v_mul_f64 v[16:17], v[14:15], v[29:30]
	v_fma_f64 v[29:30], v[14:15], v[27:28], -v[12:13]
	global_load_dwordx4 v[12:15], v37, s[12:13] offset:48
	v_fma_f64 v[27:28], v[33:34], v[27:28], v[16:17]
	global_load_dwordx4 v[16:19], v37, s[12:13]
	ds_read_b64 v[33:34], v8 offset:4000
	v_add_f64 v[41:42], v[31:32], -v[27:28]
	s_waitcnt vmcnt(1) lgkmcnt(0)
	v_mul_f64 v[37:38], v[33:34], v[14:15]
	v_mul_f64 v[14:15], v[5:6], v[14:15]
	v_fma_f64 v[5:6], v[5:6], v[12:13], -v[37:38]
	v_fma_f64 v[33:34], v[33:34], v[12:13], v[14:15]
	ds_read2_b64 v[12:15], v8 offset1:125
	s_waitcnt vmcnt(0) lgkmcnt(0)
	s_barrier
	v_mul_f64 v[37:38], v[14:15], v[18:19]
	v_mul_f64 v[18:19], v[2:3], v[18:19]
	v_add_f64 v[39:40], v[5:6], -v[29:30]
	v_add_f64 v[47:48], v[29:30], -v[5:6]
	v_fma_f64 v[2:3], v[2:3], v[16:17], -v[37:38]
	v_fma_f64 v[14:15], v[14:15], v[16:17], v[18:19]
	v_add_f64 v[16:17], v[35:36], v[29:30]
	v_add_f64 v[18:19], v[2:3], v[5:6]
	v_add_f64 v[37:38], v[2:3], -v[35:36]
	v_fma_f64 v[16:17], v[16:17], -0.5, v[0:1]
	v_add_f64 v[45:46], v[35:36], -v[2:3]
	v_fma_f64 v[18:19], v[18:19], -0.5, v[0:1]
	v_add_f64 v[0:1], v[0:1], v[2:3]
	v_add_f64 v[37:38], v[37:38], v[39:40]
	v_add_f64 v[39:40], v[14:15], -v[33:34]
	v_add_f64 v[2:3], v[2:3], -v[5:6]
	v_add_f64 v[45:46], v[45:46], v[47:48]
	v_fma_f64 v[47:48], v[41:42], s[4:5], v[18:19]
	v_add_f64 v[0:1], v[0:1], v[35:36]
	v_fma_f64 v[18:19], v[41:42], s[0:1], v[18:19]
	v_fma_f64 v[43:44], v[39:40], s[0:1], v[16:17]
	;; [unrolled: 1-line block ×4, first 2 shown]
	v_add_f64 v[0:1], v[0:1], v[29:30]
	v_fma_f64 v[18:19], v[39:40], s[6:7], v[18:19]
	v_fma_f64 v[43:44], v[41:42], s[2:3], v[43:44]
	;; [unrolled: 1-line block ×3, first 2 shown]
	v_add_f64 v[0:1], v[0:1], v[5:6]
	v_add_f64 v[5:6], v[35:36], -v[29:30]
	v_fma_f64 v[43:44], v[37:38], s[8:9], v[43:44]
	v_add_f64 v[29:30], v[14:15], -v[31:32]
	v_add_f64 v[35:36], v[33:34], -v[27:28]
	v_fma_f64 v[16:17], v[37:38], s[8:9], v[16:17]
	v_fma_f64 v[18:19], v[45:46], s[8:9], v[18:19]
	ds_write2_b64 v7, v[0:1], v[43:44] offset1:5
	v_add_f64 v[0:1], v[31:32], v[27:28]
	v_add_f64 v[43:44], v[14:15], v[33:34]
	;; [unrolled: 1-line block ×3, first 2 shown]
	v_fma_f64 v[0:1], v[0:1], -0.5, v[12:13]
	v_fma_f64 v[43:44], v[43:44], -0.5, v[12:13]
	v_add_f64 v[12:13], v[12:13], v[14:15]
	v_add_f64 v[14:15], v[31:32], -v[14:15]
	v_fma_f64 v[37:38], v[2:3], s[4:5], v[0:1]
	v_fma_f64 v[35:36], v[5:6], s[0:1], v[43:44]
	v_add_f64 v[12:13], v[12:13], v[31:32]
	v_fma_f64 v[39:40], v[5:6], s[4:5], v[43:44]
	v_fma_f64 v[0:1], v[2:3], s[0:1], v[0:1]
	;; [unrolled: 1-line block ×3, first 2 shown]
	ds_write2_b64 v7, v[31:32], v[18:19] offset0:10 offset1:15
	ds_write_b64 v7, v[16:17] offset:160
	v_add_f64 v[12:13], v[12:13], v[27:28]
	v_add_f64 v[27:28], v[27:28], -v[33:34]
	v_fma_f64 v[37:38], v[5:6], s[6:7], v[37:38]
	v_fma_f64 v[0:1], v[5:6], s[2:3], v[0:1]
	s_waitcnt lgkmcnt(0)
	s_barrier
	v_add_f64 v[33:34], v[12:13], v[33:34]
	v_add_f64 v[12:13], v[14:15], v[27:28]
	v_fma_f64 v[14:15], v[2:3], s[6:7], v[35:36]
	v_fma_f64 v[2:3], v[2:3], s[2:3], v[39:40]
	;; [unrolled: 1-line block ×4, first 2 shown]
	ds_read_b64 v[35:36], v8 offset:4000
	v_fma_f64 v[16:17], v[12:13], s[8:9], v[14:15]
	v_fma_f64 v[18:19], v[12:13], s[8:9], v[2:3]
	ds_read2_b64 v[0:3], v8 offset1:125
	ds_read2_b64 v[12:15], v4 offset0:122 offset1:247
	s_waitcnt lgkmcnt(0)
	s_barrier
	ds_write2_b64 v7, v[33:34], v[5:6] offset1:5
	ds_write2_b64 v7, v[16:17], v[18:19] offset0:10 offset1:15
	ds_write_b64 v7, v[27:28] offset:160
	v_mov_b32_e32 v5, 41
	v_mul_lo_u16_sdwa v5, v26, v5 dst_sel:DWORD dst_unused:UNUSED_PAD src0_sel:BYTE_0 src1_sel:DWORD
	v_lshrrev_b16_e32 v7, 10, v5
	v_mul_lo_u16_e32 v5, 25, v7
	v_sub_u16_e32 v9, v26, v5
	v_lshlrev_b32_sdwa v37, v49, v9 dst_sel:DWORD dst_unused:UNUSED_PAD src0_sel:DWORD src1_sel:BYTE_0
	s_waitcnt lgkmcnt(0)
	s_barrier
	global_load_dwordx4 v[16:19], v37, s[12:13] offset:336
	global_load_dwordx4 v[27:30], v37, s[12:13] offset:352
	ds_read2_b64 v[31:34], v4 offset0:122 offset1:247
	v_lshlrev_b32_sdwa v9, v51, v9 dst_sel:DWORD dst_unused:UNUSED_PAD src0_sel:DWORD src1_sel:BYTE_0
	v_mul_u32_u24_e32 v7, 0x3e8, v7
	s_waitcnt vmcnt(1) lgkmcnt(0)
	v_mul_f64 v[5:6], v[31:32], v[18:19]
	v_mul_f64 v[18:19], v[12:13], v[18:19]
	v_fma_f64 v[5:6], v[12:13], v[16:17], -v[5:6]
	s_waitcnt vmcnt(0)
	v_mul_f64 v[12:13], v[33:34], v[29:30]
	v_fma_f64 v[31:32], v[31:32], v[16:17], v[18:19]
	v_mul_f64 v[16:17], v[14:15], v[29:30]
	v_fma_f64 v[29:30], v[14:15], v[27:28], -v[12:13]
	global_load_dwordx4 v[12:15], v37, s[12:13] offset:368
	v_fma_f64 v[27:28], v[33:34], v[27:28], v[16:17]
	global_load_dwordx4 v[16:19], v37, s[12:13] offset:320
	ds_read_b64 v[33:34], v8 offset:4000
	s_waitcnt vmcnt(1) lgkmcnt(0)
	v_mul_f64 v[37:38], v[33:34], v[14:15]
	v_mul_f64 v[14:15], v[35:36], v[14:15]
	v_fma_f64 v[35:36], v[35:36], v[12:13], -v[37:38]
	v_fma_f64 v[33:34], v[33:34], v[12:13], v[14:15]
	ds_read2_b64 v[12:15], v8 offset1:125
	s_waitcnt vmcnt(0) lgkmcnt(0)
	s_barrier
	v_mul_f64 v[37:38], v[14:15], v[18:19]
	v_mul_f64 v[18:19], v[2:3], v[18:19]
	v_add_f64 v[43:44], v[35:36], -v[29:30]
	v_add_f64 v[45:46], v[29:30], -v[35:36]
	;; [unrolled: 1-line block ×4, first 2 shown]
	v_fma_f64 v[2:3], v[2:3], v[16:17], -v[37:38]
	v_fma_f64 v[14:15], v[14:15], v[16:17], v[18:19]
	v_add_f64 v[16:17], v[5:6], v[29:30]
	v_add_f64 v[37:38], v[31:32], v[27:28]
	;; [unrolled: 1-line block ×3, first 2 shown]
	v_add_f64 v[41:42], v[2:3], -v[5:6]
	v_fma_f64 v[16:17], v[16:17], -0.5, v[0:1]
	v_add_f64 v[39:40], v[14:15], v[33:34]
	v_fma_f64 v[37:38], v[37:38], -0.5, v[12:13]
	v_fma_f64 v[18:19], v[18:19], -0.5, v[0:1]
	v_add_f64 v[0:1], v[0:1], v[2:3]
	v_add_f64 v[41:42], v[41:42], v[43:44]
	v_add_f64 v[43:44], v[5:6], -v[2:3]
	v_fma_f64 v[39:40], v[39:40], -0.5, v[12:13]
	v_add_f64 v[12:13], v[12:13], v[14:15]
	v_add_f64 v[2:3], v[2:3], -v[35:36]
	v_add_f64 v[0:1], v[0:1], v[5:6]
	v_add_f64 v[5:6], v[5:6], -v[29:30]
	;; [unrolled: 2-line block ×3, first 2 shown]
	v_add_f64 v[12:13], v[12:13], v[31:32]
	v_add_f64 v[0:1], v[0:1], v[29:30]
	v_add_f64 v[29:30], v[31:32], -v[27:28]
	v_add_f64 v[45:46], v[45:46], v[47:48]
	v_add_f64 v[47:48], v[31:32], -v[14:15]
	v_add_f64 v[14:15], v[14:15], -v[33:34]
	v_add_f64 v[12:13], v[12:13], v[27:28]
	v_add_f64 v[0:1], v[0:1], v[35:36]
	v_fma_f64 v[31:32], v[29:30], s[4:5], v[18:19]
	v_fma_f64 v[18:19], v[29:30], s[0:1], v[18:19]
	;; [unrolled: 1-line block ×3, first 2 shown]
	v_add_f64 v[47:48], v[47:48], v[49:50]
	v_fma_f64 v[27:28], v[14:15], s[0:1], v[16:17]
	v_fma_f64 v[16:17], v[14:15], s[4:5], v[16:17]
	v_add_f64 v[12:13], v[12:13], v[33:34]
	v_fma_f64 v[27:28], v[29:30], s[2:3], v[27:28]
	v_fma_f64 v[16:17], v[29:30], s[6:7], v[16:17]
	;; [unrolled: 1-line block ×15, first 2 shown]
	v_add3_u32 v37, 0, v7, v9
	ds_write2_b64 v37, v[0:1], v[27:28] offset1:25
	ds_write2_b64 v37, v[29:30], v[14:15] offset0:50 offset1:75
	ds_write_b64 v37, v[16:17] offset:800
	s_waitcnt lgkmcnt(0)
	v_fma_f64 v[18:19], v[45:46], s[8:9], v[18:19]
	v_fma_f64 v[33:34], v[45:46], s[8:9], v[5:6]
	;; [unrolled: 1-line block ×4, first 2 shown]
	s_barrier
	ds_read2_b64 v[0:3], v8 offset1:125
	ds_read2_b64 v[4:7], v4 offset0:122 offset1:247
	ds_read_b64 v[8:9], v8 offset:4000
	s_waitcnt lgkmcnt(0)
	s_barrier
	ds_write2_b64 v37, v[12:13], v[18:19] offset1:25
	ds_write2_b64 v37, v[31:32], v[35:36] offset0:50 offset1:75
	ds_write_b64 v37, v[33:34] offset:800
	s_waitcnt lgkmcnt(0)
	s_barrier
	s_and_saveexec_b64 s[16:17], vcc
	s_cbranch_execz .LBB0_15
; %bb.14:
	v_lshlrev_b32_e32 v12, 2, v26
	v_mov_b32_e32 v13, 0
	v_lshlrev_b64 v[12:13], 4, v[12:13]
	v_mov_b32_e32 v14, s13
	v_add_co_u32_e32 v34, vcc, s12, v12
	v_addc_co_u32_e32 v35, vcc, v14, v13, vcc
	global_load_dwordx4 v[12:15], v[34:35], off offset:1936
	global_load_dwordx4 v[16:19], v[34:35], off offset:1920
	;; [unrolled: 1-line block ×4, first 2 shown]
	v_mul_lo_u32 v42, s15, v22
	v_mul_lo_u32 v43, s14, v23
	v_mad_u64_u32 v[38:39], s[12:13], s14, v22, 0
	v_sub_u32_e32 v11, 0, v11
	v_add_u32_e32 v10, v10, v11
	v_add_u32_e32 v34, 0x400, v10
	v_add3_u32 v39, v39, v43, v42
	v_lshlrev_b64 v[40:41], 4, v[20:21]
	ds_read2_b64 v[20:23], v10 offset1:125
	ds_read_b64 v[10:11], v10 offset:4000
	ds_read2_b64 v[34:37], v34 offset0:122 offset1:247
	v_lshlrev_b64 v[38:39], 4, v[38:39]
	v_mov_b32_e32 v44, s11
	v_add_co_u32_e32 v38, vcc, s10, v38
	v_addc_co_u32_e32 v39, vcc, v44, v39, vcc
	v_add_co_u32_e32 v46, vcc, v38, v40
	v_addc_co_u32_e32 v47, vcc, v39, v41, vcc
	v_lshlrev_b64 v[24:25], 4, v[24:25]
	v_add_co_u32_e32 v24, vcc, v46, v24
	v_addc_co_u32_e32 v25, vcc, v47, v25, vcc
	s_waitcnt vmcnt(3)
	v_mul_f64 v[38:39], v[4:5], v[14:15]
	s_waitcnt vmcnt(2)
	v_mul_f64 v[40:41], v[2:3], v[18:19]
	;; [unrolled: 2-line block ×4, first 2 shown]
	s_waitcnt lgkmcnt(2)
	v_mul_f64 v[18:19], v[22:23], v[18:19]
	s_waitcnt lgkmcnt(1)
	v_mul_f64 v[32:33], v[10:11], v[32:33]
	;; [unrolled: 2-line block ×3, first 2 shown]
	v_mul_f64 v[28:29], v[36:37], v[28:29]
	v_fma_f64 v[34:35], v[34:35], v[12:13], v[38:39]
	v_fma_f64 v[22:23], v[22:23], v[16:17], v[40:41]
	;; [unrolled: 1-line block ×4, first 2 shown]
	v_fma_f64 v[2:3], v[2:3], v[16:17], -v[18:19]
	v_fma_f64 v[8:9], v[8:9], v[30:31], -v[32:33]
	;; [unrolled: 1-line block ×4, first 2 shown]
	v_add_co_u32_e32 v26, vcc, 0x1000, v24
	v_add_f64 v[12:13], v[34:35], -v[22:23]
	v_add_f64 v[14:15], v[36:37], -v[10:11]
	v_add_f64 v[18:19], v[22:23], v[10:11]
	v_add_f64 v[29:30], v[22:23], -v[34:35]
	v_add_f64 v[31:32], v[10:11], -v[36:37]
	v_add_f64 v[38:39], v[34:35], v[36:37]
	v_add_f64 v[40:41], v[22:23], v[20:21]
	;; [unrolled: 1-line block ×4, first 2 shown]
	v_add_f64 v[16:17], v[2:3], -v[8:9]
	v_add_f64 v[42:43], v[4:5], -v[2:3]
	;; [unrolled: 1-line block ×3, first 2 shown]
	v_add_f64 v[2:3], v[0:1], v[2:3]
	v_add_f64 v[27:28], v[4:5], -v[6:7]
	v_add_f64 v[44:45], v[6:7], -v[8:9]
	;; [unrolled: 1-line block ×4, first 2 shown]
	v_add_f64 v[12:13], v[12:13], v[14:15]
	v_fma_f64 v[14:15], v[18:19], -0.5, v[20:21]
	v_add_f64 v[18:19], v[29:30], v[31:32]
	v_fma_f64 v[20:21], v[38:39], -0.5, v[20:21]
	;; [unrolled: 2-line block ×3, first 2 shown]
	v_fma_f64 v[0:1], v[54:55], -0.5, v[0:1]
	v_add_f64 v[2:3], v[4:5], v[2:3]
	v_add_f64 v[52:53], v[8:9], -v[6:7]
	v_add_f64 v[31:32], v[42:43], v[44:45]
	v_fma_f64 v[4:5], v[27:28], s[4:5], v[14:15]
	v_fma_f64 v[14:15], v[27:28], s[0:1], v[14:15]
	;; [unrolled: 1-line block ×4, first 2 shown]
	v_add_f64 v[29:30], v[36:37], v[29:30]
	v_fma_f64 v[42:43], v[22:23], s[4:5], v[0:1]
	v_fma_f64 v[0:1], v[22:23], s[0:1], v[0:1]
	;; [unrolled: 1-line block ×4, first 2 shown]
	v_add_f64 v[6:7], v[2:3], v[6:7]
	v_add_f64 v[38:39], v[50:51], v[52:53]
	v_fma_f64 v[4:5], v[16:17], s[2:3], v[4:5]
	v_fma_f64 v[14:15], v[16:17], s[6:7], v[14:15]
	v_fma_f64 v[16:17], v[27:28], s[2:3], v[40:41]
	v_fma_f64 v[20:21], v[27:28], s[6:7], v[20:21]
	v_add_f64 v[2:3], v[10:11], v[29:30]
	v_fma_f64 v[29:30], v[46:47], s[2:3], v[0:1]
	v_fma_f64 v[27:28], v[22:23], s[6:7], v[35:36]
	v_fma_f64 v[22:23], v[22:23], s[2:3], v[33:34]
	v_fma_f64 v[33:34], v[46:47], s[6:7], v[42:43]
	;; [unrolled: 5-line block ×3, first 2 shown]
	v_fma_f64 v[6:7], v[12:13], s[8:9], v[4:5]
	v_fma_f64 v[8:9], v[31:32], s[8:9], v[22:23]
	;; [unrolled: 1-line block ×4, first 2 shown]
	v_addc_co_u32_e32 v27, vcc, 0, v25, vcc
	global_store_dwordx4 v[24:25], v[0:3], off
	global_store_dwordx4 v[24:25], v[16:19], off offset:2000
	global_store_dwordx4 v[24:25], v[8:11], off offset:4000
	;; [unrolled: 1-line block ×4, first 2 shown]
.LBB0_15:
	s_endpgm
	.section	.rodata,"a",@progbits
	.p2align	6, 0x0
	.amdhsa_kernel fft_rtc_fwd_len625_factors_5_5_5_5_wgs_125_tpt_125_halfLds_dp_op_CI_CI_unitstride_sbrr_dirReg
		.amdhsa_group_segment_fixed_size 0
		.amdhsa_private_segment_fixed_size 0
		.amdhsa_kernarg_size 104
		.amdhsa_user_sgpr_count 6
		.amdhsa_user_sgpr_private_segment_buffer 1
		.amdhsa_user_sgpr_dispatch_ptr 0
		.amdhsa_user_sgpr_queue_ptr 0
		.amdhsa_user_sgpr_kernarg_segment_ptr 1
		.amdhsa_user_sgpr_dispatch_id 0
		.amdhsa_user_sgpr_flat_scratch_init 0
		.amdhsa_user_sgpr_private_segment_size 0
		.amdhsa_uses_dynamic_stack 0
		.amdhsa_system_sgpr_private_segment_wavefront_offset 0
		.amdhsa_system_sgpr_workgroup_id_x 1
		.amdhsa_system_sgpr_workgroup_id_y 0
		.amdhsa_system_sgpr_workgroup_id_z 0
		.amdhsa_system_sgpr_workgroup_info 0
		.amdhsa_system_vgpr_workitem_id 0
		.amdhsa_next_free_vgpr 56
		.amdhsa_next_free_sgpr 28
		.amdhsa_reserve_vcc 1
		.amdhsa_reserve_flat_scratch 0
		.amdhsa_float_round_mode_32 0
		.amdhsa_float_round_mode_16_64 0
		.amdhsa_float_denorm_mode_32 3
		.amdhsa_float_denorm_mode_16_64 3
		.amdhsa_dx10_clamp 1
		.amdhsa_ieee_mode 1
		.amdhsa_fp16_overflow 0
		.amdhsa_exception_fp_ieee_invalid_op 0
		.amdhsa_exception_fp_denorm_src 0
		.amdhsa_exception_fp_ieee_div_zero 0
		.amdhsa_exception_fp_ieee_overflow 0
		.amdhsa_exception_fp_ieee_underflow 0
		.amdhsa_exception_fp_ieee_inexact 0
		.amdhsa_exception_int_div_zero 0
	.end_amdhsa_kernel
	.text
.Lfunc_end0:
	.size	fft_rtc_fwd_len625_factors_5_5_5_5_wgs_125_tpt_125_halfLds_dp_op_CI_CI_unitstride_sbrr_dirReg, .Lfunc_end0-fft_rtc_fwd_len625_factors_5_5_5_5_wgs_125_tpt_125_halfLds_dp_op_CI_CI_unitstride_sbrr_dirReg
                                        ; -- End function
	.section	.AMDGPU.csdata,"",@progbits
; Kernel info:
; codeLenInByte = 4536
; NumSgprs: 32
; NumVgprs: 56
; ScratchSize: 0
; MemoryBound: 1
; FloatMode: 240
; IeeeMode: 1
; LDSByteSize: 0 bytes/workgroup (compile time only)
; SGPRBlocks: 3
; VGPRBlocks: 13
; NumSGPRsForWavesPerEU: 32
; NumVGPRsForWavesPerEU: 56
; Occupancy: 4
; WaveLimiterHint : 1
; COMPUTE_PGM_RSRC2:SCRATCH_EN: 0
; COMPUTE_PGM_RSRC2:USER_SGPR: 6
; COMPUTE_PGM_RSRC2:TRAP_HANDLER: 0
; COMPUTE_PGM_RSRC2:TGID_X_EN: 1
; COMPUTE_PGM_RSRC2:TGID_Y_EN: 0
; COMPUTE_PGM_RSRC2:TGID_Z_EN: 0
; COMPUTE_PGM_RSRC2:TIDIG_COMP_CNT: 0
	.type	__hip_cuid_5bc364cd960b5d60,@object ; @__hip_cuid_5bc364cd960b5d60
	.section	.bss,"aw",@nobits
	.globl	__hip_cuid_5bc364cd960b5d60
__hip_cuid_5bc364cd960b5d60:
	.byte	0                               ; 0x0
	.size	__hip_cuid_5bc364cd960b5d60, 1

	.ident	"AMD clang version 19.0.0git (https://github.com/RadeonOpenCompute/llvm-project roc-6.4.0 25133 c7fe45cf4b819c5991fe208aaa96edf142730f1d)"
	.section	".note.GNU-stack","",@progbits
	.addrsig
	.addrsig_sym __hip_cuid_5bc364cd960b5d60
	.amdgpu_metadata
---
amdhsa.kernels:
  - .args:
      - .actual_access:  read_only
        .address_space:  global
        .offset:         0
        .size:           8
        .value_kind:     global_buffer
      - .offset:         8
        .size:           8
        .value_kind:     by_value
      - .actual_access:  read_only
        .address_space:  global
        .offset:         16
        .size:           8
        .value_kind:     global_buffer
      - .actual_access:  read_only
        .address_space:  global
        .offset:         24
        .size:           8
        .value_kind:     global_buffer
      - .actual_access:  read_only
        .address_space:  global
        .offset:         32
        .size:           8
        .value_kind:     global_buffer
      - .offset:         40
        .size:           8
        .value_kind:     by_value
      - .actual_access:  read_only
        .address_space:  global
        .offset:         48
        .size:           8
        .value_kind:     global_buffer
      - .actual_access:  read_only
        .address_space:  global
        .offset:         56
        .size:           8
        .value_kind:     global_buffer
      - .offset:         64
        .size:           4
        .value_kind:     by_value
      - .actual_access:  read_only
        .address_space:  global
        .offset:         72
        .size:           8
        .value_kind:     global_buffer
      - .actual_access:  read_only
        .address_space:  global
        .offset:         80
        .size:           8
        .value_kind:     global_buffer
      - .actual_access:  read_only
        .address_space:  global
        .offset:         88
        .size:           8
        .value_kind:     global_buffer
      - .actual_access:  write_only
        .address_space:  global
        .offset:         96
        .size:           8
        .value_kind:     global_buffer
    .group_segment_fixed_size: 0
    .kernarg_segment_align: 8
    .kernarg_segment_size: 104
    .language:       OpenCL C
    .language_version:
      - 2
      - 0
    .max_flat_workgroup_size: 125
    .name:           fft_rtc_fwd_len625_factors_5_5_5_5_wgs_125_tpt_125_halfLds_dp_op_CI_CI_unitstride_sbrr_dirReg
    .private_segment_fixed_size: 0
    .sgpr_count:     32
    .sgpr_spill_count: 0
    .symbol:         fft_rtc_fwd_len625_factors_5_5_5_5_wgs_125_tpt_125_halfLds_dp_op_CI_CI_unitstride_sbrr_dirReg.kd
    .uniform_work_group_size: 1
    .uses_dynamic_stack: false
    .vgpr_count:     56
    .vgpr_spill_count: 0
    .wavefront_size: 64
amdhsa.target:   amdgcn-amd-amdhsa--gfx906
amdhsa.version:
  - 1
  - 2
...

	.end_amdgpu_metadata
